;; amdgpu-corpus repo=ROCm/rocFFT kind=compiled arch=gfx950 opt=O3
	.text
	.amdgcn_target "amdgcn-amd-amdhsa--gfx950"
	.amdhsa_code_object_version 6
	.protected	fft_rtc_fwd_len198_factors_11_2_9_wgs_110_tpt_22_sp_ip_CI_unitstride_sbrr_C2R_dirReg ; -- Begin function fft_rtc_fwd_len198_factors_11_2_9_wgs_110_tpt_22_sp_ip_CI_unitstride_sbrr_C2R_dirReg
	.globl	fft_rtc_fwd_len198_factors_11_2_9_wgs_110_tpt_22_sp_ip_CI_unitstride_sbrr_C2R_dirReg
	.p2align	8
	.type	fft_rtc_fwd_len198_factors_11_2_9_wgs_110_tpt_22_sp_ip_CI_unitstride_sbrr_C2R_dirReg,@function
fft_rtc_fwd_len198_factors_11_2_9_wgs_110_tpt_22_sp_ip_CI_unitstride_sbrr_C2R_dirReg: ; @fft_rtc_fwd_len198_factors_11_2_9_wgs_110_tpt_22_sp_ip_CI_unitstride_sbrr_C2R_dirReg
; %bb.0:
	s_load_dwordx2 s[8:9], s[0:1], 0x50
	s_load_dwordx4 s[4:7], s[0:1], 0x0
	s_load_dwordx2 s[10:11], s[0:1], 0x18
	v_mul_u32_u24_e32 v1, 0xba3, v0
	v_lshrrev_b32_e32 v2, 16, v1
	v_mad_u64_u32 v[2:3], s[2:3], s2, 5, v[2:3]
	v_mov_b32_e32 v6, 0
	v_mov_b32_e32 v3, v6
	s_waitcnt lgkmcnt(0)
	v_cmp_lt_u64_e64 s[2:3], s[6:7], 2
	s_and_b64 vcc, exec, s[2:3]
	v_mov_b64_e32 v[4:5], 0
	v_mov_b64_e32 v[10:11], v[2:3]
	s_cbranch_vccnz .LBB0_8
; %bb.1:
	s_load_dwordx2 s[2:3], s[0:1], 0x10
	s_add_u32 s12, s10, 8
	s_addc_u32 s13, s11, 0
	s_mov_b64 s[14:15], 1
	v_mov_b64_e32 v[4:5], 0
	s_waitcnt lgkmcnt(0)
	s_add_u32 s16, s2, 8
	s_addc_u32 s17, s3, 0
	v_mov_b64_e32 v[8:9], v[2:3]
.LBB0_2:                                ; =>This Inner Loop Header: Depth=1
	s_load_dwordx2 s[18:19], s[16:17], 0x0
                                        ; implicit-def: $vgpr10_vgpr11
	s_waitcnt lgkmcnt(0)
	v_or_b32_e32 v7, s19, v9
	v_cmp_ne_u64_e32 vcc, 0, v[6:7]
	s_and_saveexec_b64 s[2:3], vcc
	s_xor_b64 s[20:21], exec, s[2:3]
	s_cbranch_execz .LBB0_4
; %bb.3:                                ;   in Loop: Header=BB0_2 Depth=1
	v_cvt_f32_u32_e32 v1, s18
	v_cvt_f32_u32_e32 v3, s19
	s_sub_u32 s2, 0, s18
	s_subb_u32 s3, 0, s19
	v_fmac_f32_e32 v1, 0x4f800000, v3
	v_rcp_f32_e32 v1, v1
	s_nop 0
	v_mul_f32_e32 v1, 0x5f7ffffc, v1
	v_mul_f32_e32 v3, 0x2f800000, v1
	v_trunc_f32_e32 v3, v3
	v_fmac_f32_e32 v1, 0xcf800000, v3
	v_cvt_u32_f32_e32 v3, v3
	v_cvt_u32_f32_e32 v1, v1
	v_mul_lo_u32 v7, s2, v3
	v_mul_hi_u32 v10, s2, v1
	v_mul_lo_u32 v11, s3, v1
	v_add_u32_e32 v7, v10, v7
	v_mul_lo_u32 v14, s2, v1
	v_add_u32_e32 v7, v7, v11
	v_mul_hi_u32 v10, v1, v14
	v_mul_hi_u32 v13, v1, v7
	v_mul_lo_u32 v12, v1, v7
	v_mov_b32_e32 v11, v6
	v_lshl_add_u64 v[10:11], v[10:11], 0, v[12:13]
	v_mul_hi_u32 v13, v3, v14
	v_mul_lo_u32 v14, v3, v14
	v_add_co_u32_e32 v10, vcc, v10, v14
	v_mul_hi_u32 v12, v3, v7
	s_nop 0
	v_addc_co_u32_e32 v10, vcc, v11, v13, vcc
	v_mov_b32_e32 v11, v6
	s_nop 0
	v_addc_co_u32_e32 v13, vcc, 0, v12, vcc
	v_mul_lo_u32 v12, v3, v7
	v_lshl_add_u64 v[10:11], v[10:11], 0, v[12:13]
	v_add_co_u32_e32 v1, vcc, v1, v10
	v_mul_hi_u32 v10, s2, v1
	s_nop 0
	v_addc_co_u32_e32 v3, vcc, v3, v11, vcc
	v_mul_lo_u32 v7, s2, v3
	v_add_u32_e32 v7, v10, v7
	v_mul_lo_u32 v10, s3, v1
	v_add_u32_e32 v7, v7, v10
	v_mul_lo_u32 v12, s2, v1
	v_mul_hi_u32 v15, v3, v12
	v_mul_lo_u32 v16, v3, v12
	v_mul_hi_u32 v11, v1, v7
	;; [unrolled: 2-line block ×3, first 2 shown]
	v_mov_b32_e32 v13, v6
	v_lshl_add_u64 v[10:11], v[12:13], 0, v[10:11]
	v_add_co_u32_e32 v10, vcc, v10, v16
	v_mul_hi_u32 v14, v3, v7
	s_nop 0
	v_addc_co_u32_e32 v10, vcc, v11, v15, vcc
	v_mul_lo_u32 v12, v3, v7
	s_nop 0
	v_addc_co_u32_e32 v13, vcc, 0, v14, vcc
	v_mov_b32_e32 v11, v6
	v_lshl_add_u64 v[10:11], v[10:11], 0, v[12:13]
	v_add_co_u32_e32 v1, vcc, v1, v10
	v_mul_hi_u32 v12, v8, v1
	s_nop 0
	v_addc_co_u32_e32 v3, vcc, v3, v11, vcc
	v_mad_u64_u32 v[10:11], s[2:3], v8, v3, 0
	v_mov_b32_e32 v13, v6
	v_lshl_add_u64 v[10:11], v[12:13], 0, v[10:11]
	v_mad_u64_u32 v[14:15], s[2:3], v9, v1, 0
	v_add_co_u32_e32 v1, vcc, v10, v14
	v_mad_u64_u32 v[12:13], s[2:3], v9, v3, 0
	s_nop 0
	v_addc_co_u32_e32 v10, vcc, v11, v15, vcc
	v_mov_b32_e32 v11, v6
	s_nop 0
	v_addc_co_u32_e32 v13, vcc, 0, v13, vcc
	v_lshl_add_u64 v[10:11], v[10:11], 0, v[12:13]
	v_mul_lo_u32 v1, s19, v10
	v_mul_lo_u32 v3, s18, v11
	v_mad_u64_u32 v[12:13], s[2:3], s18, v10, 0
	v_add3_u32 v1, v13, v3, v1
	v_sub_u32_e32 v3, v9, v1
	v_mov_b32_e32 v7, s19
	v_sub_co_u32_e32 v16, vcc, v8, v12
	v_lshl_add_u64 v[14:15], v[10:11], 0, 1
	s_nop 0
	v_subb_co_u32_e64 v3, s[2:3], v3, v7, vcc
	v_subrev_co_u32_e64 v7, s[2:3], s18, v16
	v_subb_co_u32_e32 v1, vcc, v9, v1, vcc
	s_nop 0
	v_subbrev_co_u32_e64 v3, s[2:3], 0, v3, s[2:3]
	v_cmp_le_u32_e64 s[2:3], s19, v3
	v_cmp_le_u32_e32 vcc, s19, v1
	s_nop 0
	v_cndmask_b32_e64 v12, 0, -1, s[2:3]
	v_cmp_le_u32_e64 s[2:3], s18, v7
	s_nop 1
	v_cndmask_b32_e64 v7, 0, -1, s[2:3]
	v_cmp_eq_u32_e64 s[2:3], s19, v3
	s_nop 1
	v_cndmask_b32_e64 v3, v12, v7, s[2:3]
	v_lshl_add_u64 v[12:13], v[10:11], 0, 2
	v_cmp_ne_u32_e64 s[2:3], 0, v3
	v_cndmask_b32_e64 v7, 0, -1, vcc
	v_cmp_le_u32_e32 vcc, s18, v16
	v_cndmask_b32_e64 v3, v15, v13, s[2:3]
	s_nop 0
	v_cndmask_b32_e64 v13, 0, -1, vcc
	v_cmp_eq_u32_e32 vcc, s19, v1
	s_nop 1
	v_cndmask_b32_e32 v1, v7, v13, vcc
	v_cmp_ne_u32_e32 vcc, 0, v1
	v_cndmask_b32_e64 v1, v14, v12, s[2:3]
	s_nop 0
	v_cndmask_b32_e32 v11, v11, v3, vcc
	v_cndmask_b32_e32 v10, v10, v1, vcc
.LBB0_4:                                ;   in Loop: Header=BB0_2 Depth=1
	s_andn2_saveexec_b64 s[2:3], s[20:21]
	s_cbranch_execz .LBB0_6
; %bb.5:                                ;   in Loop: Header=BB0_2 Depth=1
	v_cvt_f32_u32_e32 v1, s18
	s_sub_i32 s20, 0, s18
	v_mov_b32_e32 v11, v6
	v_rcp_iflag_f32_e32 v1, v1
	s_nop 0
	v_mul_f32_e32 v1, 0x4f7ffffe, v1
	v_cvt_u32_f32_e32 v1, v1
	v_mul_lo_u32 v3, s20, v1
	v_mul_hi_u32 v3, v1, v3
	v_add_u32_e32 v1, v1, v3
	v_mul_hi_u32 v1, v8, v1
	v_mul_lo_u32 v3, v1, s18
	v_sub_u32_e32 v3, v8, v3
	v_add_u32_e32 v7, 1, v1
	v_subrev_u32_e32 v10, s18, v3
	v_cmp_le_u32_e32 vcc, s18, v3
	s_nop 1
	v_cndmask_b32_e32 v3, v3, v10, vcc
	v_cndmask_b32_e32 v1, v1, v7, vcc
	v_add_u32_e32 v7, 1, v1
	v_cmp_le_u32_e32 vcc, s18, v3
	s_nop 1
	v_cndmask_b32_e32 v10, v1, v7, vcc
.LBB0_6:                                ;   in Loop: Header=BB0_2 Depth=1
	s_or_b64 exec, exec, s[2:3]
	v_mad_u64_u32 v[12:13], s[2:3], v10, s18, 0
	s_load_dwordx2 s[2:3], s[12:13], 0x0
	s_add_u32 s14, s14, 1
	v_mul_lo_u32 v1, v11, s18
	v_mul_lo_u32 v3, v10, s19
	s_addc_u32 s15, s15, 0
	v_add3_u32 v1, v13, v3, v1
	v_sub_co_u32_e32 v3, vcc, v8, v12
	s_add_u32 s12, s12, 8
	s_nop 0
	v_subb_co_u32_e32 v1, vcc, v9, v1, vcc
	s_addc_u32 s13, s13, 0
	v_mov_b64_e32 v[8:9], s[6:7]
	s_waitcnt lgkmcnt(0)
	v_mul_lo_u32 v1, s2, v1
	v_mul_lo_u32 v7, s3, v3
	v_mad_u64_u32 v[4:5], s[2:3], s2, v3, v[4:5]
	s_add_u32 s16, s16, 8
	v_cmp_ge_u64_e32 vcc, s[14:15], v[8:9]
	v_add3_u32 v5, v7, v5, v1
	s_addc_u32 s17, s17, 0
	s_cbranch_vccnz .LBB0_8
; %bb.7:                                ;   in Loop: Header=BB0_2 Depth=1
	v_mov_b64_e32 v[8:9], v[10:11]
	s_branch .LBB0_2
.LBB0_8:
	s_lshl_b64 s[2:3], s[6:7], 3
	s_add_u32 s2, s10, s2
	s_addc_u32 s3, s11, s3
	s_load_dwordx2 s[6:7], s[2:3], 0x0
	s_load_dwordx2 s[10:11], s[0:1], 0x20
	s_waitcnt lgkmcnt(0)
	v_mad_u64_u32 v[6:7], s[0:1], s6, v10, v[4:5]
	v_mul_lo_u32 v1, s6, v11
	v_mul_lo_u32 v3, s7, v10
	s_mov_b32 s0, 0xcccccccd
	v_add3_u32 v7, v3, v7, v1
	v_mul_hi_u32 v1, v2, s0
	v_lshrrev_b32_e32 v1, 2, v1
	v_lshl_add_u32 v1, v1, 2, v1
	v_sub_u32_e32 v1, v2, v1
	s_mov_b32 s0, 0xba2e8bb
	v_mul_u32_u24_e32 v4, 0xc7, v1
	v_mul_hi_u32 v1, v0, s0
	v_mul_u32_u24_e32 v1, 22, v1
	v_cmp_gt_u64_e32 vcc, s[10:11], v[10:11]
	v_sub_u32_e32 v26, v0, v1
	v_lshl_add_u64 v[24:25], v[6:7], 3, s[8:9]
	v_lshlrev_b32_e32 v29, 3, v4
	s_and_saveexec_b64 s[2:3], vcc
	s_cbranch_execz .LBB0_12
; %bb.9:
	v_mov_b32_e32 v27, 0
	v_lshl_add_u64 v[0:1], v[26:27], 3, v[24:25]
	global_load_dwordx2 v[2:3], v[0:1], off
	global_load_dwordx2 v[6:7], v[0:1], off offset:176
	global_load_dwordx2 v[8:9], v[0:1], off offset:352
	;; [unrolled: 1-line block ×8, first 2 shown]
	v_lshlrev_b32_e32 v0, 3, v26
	v_add3_u32 v0, 0, v29, v0
	v_cmp_eq_u32_e64 s[0:1], 21, v26
	s_waitcnt vmcnt(7)
	ds_write2_b64 v0, v[2:3], v[6:7] offset1:22
	s_waitcnt vmcnt(5)
	ds_write2_b64 v0, v[8:9], v[10:11] offset0:44 offset1:66
	s_waitcnt vmcnt(3)
	ds_write2_b64 v0, v[12:13], v[14:15] offset0:88 offset1:110
	;; [unrolled: 2-line block ×3, first 2 shown]
	s_waitcnt vmcnt(0)
	ds_write_b64 v0, v[20:21] offset:1408
	s_and_saveexec_b64 s[6:7], s[0:1]
	s_cbranch_execz .LBB0_11
; %bb.10:
	global_load_dwordx2 v[2:3], v[24:25], off offset:1584
	v_mov_b32_e32 v26, 21
	s_waitcnt vmcnt(0)
	ds_write_b64 v0, v[2:3] offset:1416
.LBB0_11:
	s_or_b64 exec, exec, s[6:7]
.LBB0_12:
	s_or_b64 exec, exec, s[2:3]
	v_lshl_add_u32 v92, v4, 3, 0
	v_lshlrev_b32_e32 v28, 3, v26
	v_add_u32_e32 v93, v92, v28
	s_waitcnt lgkmcnt(0)
	s_barrier
	v_sub_u32_e32 v5, v92, v28
	ds_read_b32 v1, v93
	ds_read_b32 v2, v5 offset:1584
	v_cmp_ne_u32_e64 s[0:1], 0, v26
	s_waitcnt lgkmcnt(0)
	v_add_f32_e32 v0, v2, v1
	v_sub_f32_e32 v1, v1, v2
                                        ; implicit-def: $vgpr2_vgpr3
	s_and_saveexec_b64 s[2:3], s[0:1]
	s_xor_b64 s[0:1], exec, s[2:3]
	s_cbranch_execz .LBB0_14
; %bb.13:
	v_mov_b32_e32 v27, 0
	v_lshl_add_u64 v[2:3], v[26:27], 3, s[4:5]
	global_load_dwordx2 v[6:7], v[2:3], off offset:1496
	ds_read_b32 v11, v5 offset:1588
	ds_read_b32 v12, v93 offset:4
	v_mov_b32_e32 v8, v1
	v_mov_b32_e32 v10, v0
	;; [unrolled: 1-line block ×3, first 2 shown]
	v_mov_b64_e32 v[2:3], v[26:27]
	s_waitcnt lgkmcnt(0)
	v_add_f32_e32 v9, v11, v12
	v_sub_f32_e32 v11, v12, v11
	v_mov_b32_e32 v12, v9
	s_waitcnt vmcnt(0)
	v_pk_mul_f32 v[14:15], v[8:9], v[6:7] op_sel:[0,1]
	v_pk_fma_f32 v[8:9], v[8:9], v[6:7], v[10:11] op_sel:[0,1,0]
	v_mov_b32_e32 v1, v15
	v_mov_b32_e32 v15, v11
	v_pk_fma_f32 v[16:17], v[6:7], v[12:13], v[8:9] neg_lo:[1,0,0] neg_hi:[1,0,0]
	v_pk_fma_f32 v[8:9], v[6:7], v[12:13], v[8:9] op_sel_hi:[0,1,1]
	v_pk_add_f32 v[0:1], v[0:1], v[14:15] neg_lo:[0,1] neg_hi:[0,1]
	v_mov_b32_e32 v17, v9
	v_pk_fma_f32 v[0:1], v[6:7], v[12:13], v[0:1] op_sel_hi:[0,1,1]
	ds_write_b64 v5, v[0:1] offset:1584
	v_mov_b64_e32 v[0:1], v[16:17]
.LBB0_14:
	s_andn2_saveexec_b64 s[0:1], s[0:1]
	s_cbranch_execz .LBB0_16
; %bb.15:
	ds_read_b64 v[2:3], v92 offset:792
	s_mov_b32 s2, 2.0
	s_mov_b32 s3, -2.0
	s_waitcnt lgkmcnt(0)
	v_pk_mul_f32 v[2:3], v[2:3], s[2:3]
	ds_write_b64 v92, v[2:3] offset:792
	v_mov_b64_e32 v[2:3], 0
.LBB0_16:
	s_or_b64 exec, exec, s[0:1]
	s_add_u32 s0, s4, 0x5d8
	s_addc_u32 s1, s5, 0
	v_lshl_add_u64 v[2:3], v[2:3], 3, s[0:1]
	global_load_dwordx2 v[6:7], v[2:3], off offset:176
	global_load_dwordx2 v[8:9], v[2:3], off offset:352
	;; [unrolled: 1-line block ×3, first 2 shown]
	ds_write_b64 v93, v[0:1]
	ds_read_b64 v[0:1], v5 offset:1408
	ds_read_b64 v[12:13], v93 offset:176
	v_cmp_gt_u32_e64 s[0:1], 11, v26
	s_waitcnt lgkmcnt(0)
	v_pk_add_f32 v[14:15], v[12:13], v[0:1]
	v_pk_add_f32 v[0:1], v[12:13], v[0:1] neg_lo:[0,1] neg_hi:[0,1]
	v_mov_b32_e32 v12, v15
	v_mov_b32_e32 v13, v0
	;; [unrolled: 1-line block ×3, first 2 shown]
	s_waitcnt vmcnt(2)
	v_pk_mul_f32 v[16:17], v[12:13], v[6:7] op_sel:[0,1]
	s_nop 0
	v_pk_add_f32 v[18:19], v[14:15], v[16:17] op_sel:[0,1] op_sel_hi:[1,0]
	v_mov_b32_e32 v15, v16
	v_mov_b32_e32 v0, v17
	v_pk_fma_f32 v[16:17], v[6:7], v[12:13], v[18:19] neg_lo:[1,0,0] neg_hi:[1,0,0]
	v_pk_fma_f32 v[18:19], v[6:7], v[12:13], v[18:19] op_sel_hi:[0,1,1]
	v_pk_add_f32 v[0:1], v[14:15], v[0:1] neg_lo:[0,1] neg_hi:[0,1]
	v_mov_b32_e32 v17, v19
	v_pk_fma_f32 v[0:1], v[6:7], v[12:13], v[0:1] op_sel_hi:[0,1,1]
	ds_write_b64 v93, v[16:17] offset:176
	ds_write_b64 v5, v[0:1] offset:1408
	ds_read_b64 v[0:1], v5 offset:1232
	ds_read_b64 v[6:7], v93 offset:352
	s_waitcnt lgkmcnt(0)
	v_pk_add_f32 v[12:13], v[6:7], v[0:1]
	v_pk_add_f32 v[0:1], v[6:7], v[0:1] neg_lo:[0,1] neg_hi:[0,1]
	v_mov_b32_e32 v6, v13
	v_mov_b32_e32 v7, v0
	;; [unrolled: 1-line block ×3, first 2 shown]
	s_waitcnt vmcnt(1)
	v_pk_mul_f32 v[14:15], v[6:7], v[8:9] op_sel:[0,1]
	s_nop 0
	v_pk_add_f32 v[16:17], v[12:13], v[14:15] op_sel:[0,1] op_sel_hi:[1,0]
	v_mov_b32_e32 v13, v14
	v_mov_b32_e32 v0, v15
	v_pk_fma_f32 v[14:15], v[8:9], v[6:7], v[16:17] neg_lo:[1,0,0] neg_hi:[1,0,0]
	v_pk_fma_f32 v[16:17], v[8:9], v[6:7], v[16:17] op_sel_hi:[0,1,1]
	v_pk_add_f32 v[0:1], v[12:13], v[0:1] neg_lo:[0,1] neg_hi:[0,1]
	v_mov_b32_e32 v15, v17
	v_pk_fma_f32 v[0:1], v[8:9], v[6:7], v[0:1] op_sel_hi:[0,1,1]
	ds_write_b64 v93, v[14:15] offset:352
	ds_write_b64 v5, v[0:1] offset:1232
	ds_read_b64 v[0:1], v5 offset:1056
	ds_read_b64 v[6:7], v93 offset:528
	s_waitcnt lgkmcnt(0)
	v_pk_add_f32 v[8:9], v[6:7], v[0:1]
	v_pk_add_f32 v[0:1], v[6:7], v[0:1] neg_lo:[0,1] neg_hi:[0,1]
	v_mov_b32_e32 v6, v9
	v_mov_b32_e32 v7, v0
	;; [unrolled: 1-line block ×3, first 2 shown]
	s_waitcnt vmcnt(0)
	v_pk_mul_f32 v[12:13], v[6:7], v[10:11] op_sel:[0,1]
	s_nop 0
	v_pk_add_f32 v[14:15], v[8:9], v[12:13] op_sel:[0,1] op_sel_hi:[1,0]
	v_mov_b32_e32 v9, v12
	v_mov_b32_e32 v0, v13
	v_pk_fma_f32 v[12:13], v[10:11], v[6:7], v[14:15] neg_lo:[1,0,0] neg_hi:[1,0,0]
	v_pk_fma_f32 v[14:15], v[10:11], v[6:7], v[14:15] op_sel_hi:[0,1,1]
	v_pk_add_f32 v[0:1], v[8:9], v[0:1] neg_lo:[0,1] neg_hi:[0,1]
	v_mov_b32_e32 v13, v15
	v_pk_fma_f32 v[0:1], v[10:11], v[6:7], v[0:1] op_sel_hi:[0,1,1]
	ds_write_b64 v93, v[12:13] offset:528
	ds_write_b64 v5, v[0:1] offset:1056
	s_and_saveexec_b64 s[2:3], s[0:1]
	s_cbranch_execz .LBB0_18
; %bb.17:
	global_load_dwordx2 v[0:1], v[2:3], off offset:704
	ds_read_b64 v[2:3], v5 offset:880
	ds_read_b64 v[6:7], v93 offset:704
	s_waitcnt lgkmcnt(0)
	v_pk_add_f32 v[8:9], v[6:7], v[2:3]
	v_pk_add_f32 v[2:3], v[6:7], v[2:3] neg_lo:[0,1] neg_hi:[0,1]
	v_mov_b32_e32 v6, v9
	v_mov_b32_e32 v7, v2
	;; [unrolled: 1-line block ×3, first 2 shown]
	s_waitcnt vmcnt(0)
	v_pk_mul_f32 v[10:11], v[6:7], v[0:1] op_sel:[0,1]
	s_nop 0
	v_pk_add_f32 v[12:13], v[8:9], v[10:11] op_sel:[0,1] op_sel_hi:[1,0]
	v_mov_b32_e32 v9, v10
	v_mov_b32_e32 v2, v11
	v_pk_fma_f32 v[10:11], v[0:1], v[6:7], v[12:13] neg_lo:[1,0,0] neg_hi:[1,0,0]
	v_pk_fma_f32 v[12:13], v[0:1], v[6:7], v[12:13] op_sel_hi:[0,1,1]
	v_pk_add_f32 v[2:3], v[8:9], v[2:3] neg_lo:[0,1] neg_hi:[0,1]
	v_mov_b32_e32 v11, v13
	v_pk_fma_f32 v[0:1], v[0:1], v[6:7], v[2:3] op_sel_hi:[0,1,1]
	ds_write_b64 v93, v[10:11] offset:704
	ds_write_b64 v5, v[0:1] offset:880
.LBB0_18:
	s_or_b64 exec, exec, s[2:3]
	v_lshl_add_u32 v94, v26, 3, 0
	v_lshl_add_u32 v27, v4, 3, v94
	s_waitcnt lgkmcnt(0)
	s_barrier
	s_barrier
	ds_read2_b64 v[12:15], v27 offset0:18 offset1:36
	ds_read2_b64 v[4:7], v27 offset0:162 offset1:180
	ds_read_b64 v[30:31], v93
	ds_read2_b64 v[16:19], v27 offset0:54 offset1:72
	ds_read2_b64 v[8:11], v27 offset0:126 offset1:144
	s_mov_b32 s8, 0xbf7d64f0
	s_waitcnt lgkmcnt(3)
	v_pk_add_f32 v[34:35], v[12:13], v[6:7] neg_lo:[0,1] neg_hi:[0,1]
	v_pk_add_f32 v[32:33], v[6:7], v[12:13]
	s_mov_b32 s6, 0xbe11bafb
	v_pk_mul_f32 v[0:1], v[34:35], s[8:9] op_sel_hi:[1,0]
	v_pk_add_f32 v[38:39], v[14:15], v[4:5] neg_lo:[0,1] neg_hi:[0,1]
	s_mov_b32 s2, 0x3e903f40
	v_pk_fma_f32 v[52:53], v[32:33], s[6:7], v[0:1] op_sel:[0,0,1] op_sel_hi:[1,0,0]
	v_pk_fma_f32 v[54:55], v[32:33], s[6:7], v[0:1] op_sel:[0,0,1] op_sel_hi:[1,0,0] neg_lo:[0,0,1] neg_hi:[0,0,1]
	v_pk_add_f32 v[36:37], v[4:5], v[14:15]
	s_mov_b32 s16, 0xbf75a155
	v_pk_mul_f32 v[2:3], v[38:39], s[2:3] op_sel_hi:[1,0]
	v_mov_b32_e32 v0, v52
	v_mov_b32_e32 v1, v55
	v_pk_fma_f32 v[56:57], v[36:37], s[16:17], v[2:3] op_sel:[0,0,1] op_sel_hi:[1,0,0]
	v_pk_fma_f32 v[58:59], v[36:37], s[16:17], v[2:3] op_sel:[0,0,1] op_sel_hi:[1,0,0] neg_lo:[0,0,1] neg_hi:[0,0,1]
	s_waitcnt lgkmcnt(2)
	v_pk_add_f32 v[0:1], v[30:31], v[0:1]
	v_mov_b32_e32 v2, v56
	v_mov_b32_e32 v3, v59
	s_waitcnt lgkmcnt(0)
	v_pk_add_f32 v[42:43], v[16:17], v[10:11] neg_lo:[0,1] neg_hi:[0,1]
	s_mov_b32 s14, 0x3f68dda4
	v_pk_add_f32 v[0:1], v[2:3], v[0:1]
	v_pk_add_f32 v[40:41], v[10:11], v[16:17]
	s_mov_b32 s12, 0x3ed4b147
	v_pk_mul_f32 v[2:3], v[42:43], s[14:15] op_sel_hi:[1,0]
	v_pk_add_f32 v[46:47], v[18:19], v[8:9] neg_lo:[0,1] neg_hi:[0,1]
	v_pk_fma_f32 v[60:61], v[40:41], s[12:13], v[2:3] op_sel:[0,0,1] op_sel_hi:[1,0,0]
	v_pk_fma_f32 v[62:63], v[40:41], s[12:13], v[2:3] op_sel:[0,0,1] op_sel_hi:[1,0,0] neg_lo:[0,0,1] neg_hi:[0,0,1]
	v_mov_b32_e32 v2, v60
	v_mov_b32_e32 v3, v63
	s_mov_b32 s24, 0xbf0a6770
	v_pk_add_f32 v[0:1], v[2:3], v[0:1]
	v_pk_add_f32 v[44:45], v[8:9], v[18:19]
	s_mov_b32 s18, 0x3f575c64
	v_pk_mul_f32 v[2:3], v[46:47], s[24:25] op_sel_hi:[1,0]
	s_mov_b32 s30, 0xbf68dda4
	v_pk_fma_f32 v[64:65], v[44:45], s[18:19], v[2:3] op_sel:[0,0,1] op_sel_hi:[1,0,0]
	v_pk_fma_f32 v[66:67], v[44:45], s[18:19], v[2:3] op_sel:[0,0,1] op_sel_hi:[1,0,0] neg_lo:[0,0,1] neg_hi:[0,0,1]
	v_mov_b32_e32 v2, v64
	v_mov_b32_e32 v3, v67
	v_pk_add_f32 v[0:1], v[2:3], v[0:1]
	v_pk_mul_f32 v[2:3], v[34:35], s[30:31] op_sel_hi:[1,0]
	s_mov_b32 s22, 0xbf4178ce
	v_pk_fma_f32 v[70:71], v[32:33], s[12:13], v[2:3] op_sel:[0,0,1] op_sel_hi:[1,0,0]
	v_pk_fma_f32 v[68:69], v[32:33], s[12:13], v[2:3] op_sel:[0,0,1] op_sel_hi:[1,0,0] neg_lo:[0,0,1] neg_hi:[0,0,1]
	s_mov_b32 s20, 0xbf27a4f4
	v_pk_mul_f32 v[20:21], v[38:39], s[22:23] op_sel_hi:[1,0]
	v_mov_b32_e32 v2, v70
	v_mov_b32_e32 v3, v69
	v_pk_fma_f32 v[74:75], v[36:37], s[20:21], v[20:21] op_sel:[0,0,1] op_sel_hi:[1,0,0]
	v_pk_fma_f32 v[72:73], v[36:37], s[20:21], v[20:21] op_sel:[0,0,1] op_sel_hi:[1,0,0] neg_lo:[0,0,1] neg_hi:[0,0,1]
	v_pk_add_f32 v[2:3], v[30:31], v[2:3]
	v_mov_b32_e32 v20, v74
	v_mov_b32_e32 v21, v73
	v_pk_add_f32 v[2:3], v[20:21], v[2:3]
	v_pk_mul_f32 v[20:21], v[42:43], s[2:3] op_sel_hi:[1,0]
	s_mov_b32 s28, 0x3f7d64f0
	v_pk_fma_f32 v[76:77], v[40:41], s[16:17], v[20:21] op_sel:[0,0,1] op_sel_hi:[1,0,0]
	v_pk_fma_f32 v[78:79], v[40:41], s[16:17], v[20:21] op_sel:[0,0,1] op_sel_hi:[1,0,0] neg_lo:[0,0,1] neg_hi:[0,0,1]
	v_mov_b32_e32 v20, v76
	v_mov_b32_e32 v21, v79
	v_pk_add_f32 v[2:3], v[20:21], v[2:3]
	v_pk_mul_f32 v[20:21], v[46:47], s[28:29] op_sel_hi:[1,0]
	s_mov_b32 s26, 0x3f0a6770
	v_pk_fma_f32 v[84:85], v[44:45], s[6:7], v[20:21] op_sel:[0,0,1] op_sel_hi:[1,0,0]
	v_pk_fma_f32 v[86:87], v[44:45], s[6:7], v[20:21] op_sel:[0,0,1] op_sel_hi:[1,0,0] neg_lo:[0,0,1] neg_hi:[0,0,1]
	v_mov_b32_e32 v20, v84
	v_mov_b32_e32 v21, v87
	v_pk_add_f32 v[2:3], v[20:21], v[2:3]
	ds_read2_b64 v[20:23], v27 offset0:90 offset1:108
	v_cmp_gt_u32_e64 s[2:3], 18, v26
	s_waitcnt lgkmcnt(0)
	s_barrier
	v_pk_add_f32 v[50:51], v[20:21], v[22:23] neg_lo:[0,1] neg_hi:[0,1]
	v_pk_add_f32 v[48:49], v[22:23], v[20:21]
	v_pk_mul_f32 v[80:81], v[50:51], s[26:27] op_sel_hi:[1,0]
	v_pk_mul_f32 v[82:83], v[50:51], s[22:23] op_sel_hi:[1,0]
	v_pk_fma_f32 v[88:89], v[48:49], s[18:19], v[80:81] op_sel:[0,0,1] op_sel_hi:[1,0,0]
	v_pk_fma_f32 v[90:91], v[48:49], s[18:19], v[80:81] op_sel:[0,0,1] op_sel_hi:[1,0,0] neg_lo:[0,0,1] neg_hi:[0,0,1]
	v_mov_b32_e32 v80, v88
	v_mov_b32_e32 v81, v91
	v_pk_add_f32 v[2:3], v[80:81], v[2:3]
	v_pk_fma_f32 v[80:81], v[48:49], s[20:21], v[82:83] op_sel:[0,0,1] op_sel_hi:[1,0,0]
	v_pk_fma_f32 v[82:83], v[48:49], s[20:21], v[82:83] op_sel:[0,0,1] op_sel_hi:[1,0,0] neg_lo:[0,0,1] neg_hi:[0,0,1]
	v_mov_b32_e32 v96, v80
	v_mov_b32_e32 v97, v83
	v_pk_add_f32 v[0:1], v[96:97], v[0:1]
	s_and_saveexec_b64 s[10:11], s[2:3]
	s_cbranch_execz .LBB0_20
; %bb.19:
	v_pk_add_f32 v[12:13], v[30:31], v[12:13]
	s_mov_b32 s2, 0xbe903f40
	v_pk_add_f32 v[12:13], v[12:13], v[14:15]
	v_mov_b32_e32 v69, v71
	v_pk_add_f32 v[12:13], v[12:13], v[16:17]
	v_mov_b32_e32 v55, v53
	;; [unrolled: 2-line block ×5, first 2 shown]
	v_pk_add_f32 v[8:9], v[12:13], v[8:9]
	v_pk_mul_f32 v[12:13], v[38:39], s[30:31] op_sel_hi:[1,0]
	v_pk_add_f32 v[8:9], v[8:9], v[10:11]
	v_pk_fma_f32 v[14:15], v[36:37], s[12:13], v[12:13] op_sel:[0,0,1] op_sel_hi:[1,0,0] neg_lo:[0,0,1] neg_hi:[0,0,1]
	v_pk_add_f32 v[4:5], v[8:9], v[4:5]
	v_pk_fma_f32 v[12:13], v[36:37], s[12:13], v[12:13] op_sel:[0,0,1] op_sel_hi:[1,0,0]
	v_pk_add_f32 v[4:5], v[4:5], v[6:7]
	v_pk_mul_f32 v[6:7], v[34:35], s[24:25] op_sel_hi:[1,0]
	v_mov_b32_e32 v16, v14
	v_pk_fma_f32 v[8:9], v[32:33], s[18:19], v[6:7] op_sel:[0,0,1] op_sel_hi:[1,0,0] neg_lo:[0,0,1] neg_hi:[0,0,1]
	v_pk_fma_f32 v[6:7], v[32:33], s[18:19], v[6:7] op_sel:[0,0,1] op_sel_hi:[1,0,0]
	v_mov_b32_e32 v10, v8
	v_mov_b32_e32 v11, v7
	v_pk_add_f32 v[10:11], v[30:31], v[10:11]
	v_mov_b32_e32 v17, v13
	v_pk_add_f32 v[10:11], v[16:17], v[10:11]
	v_pk_mul_f32 v[16:17], v[42:43], s[8:9] op_sel_hi:[1,0]
	v_mul_u32_u24_e32 v7, 0x50, v26
	v_pk_fma_f32 v[18:19], v[40:41], s[6:7], v[16:17] op_sel:[0,0,1] op_sel_hi:[1,0,0] neg_lo:[0,0,1] neg_hi:[0,0,1]
	v_pk_fma_f32 v[16:17], v[40:41], s[6:7], v[16:17] op_sel:[0,0,1] op_sel_hi:[1,0,0]
	v_mov_b32_e32 v20, v18
	v_mov_b32_e32 v21, v17
	v_pk_add_f32 v[10:11], v[20:21], v[10:11]
	v_pk_mul_f32 v[20:21], v[46:47], s[22:23] op_sel_hi:[1,0]
	v_add3_u32 v8, v94, v7, v29
	v_pk_fma_f32 v[22:23], v[44:45], s[20:21], v[20:21] op_sel:[0,0,1] op_sel_hi:[1,0,0] neg_lo:[0,0,1] neg_hi:[0,0,1]
	v_pk_fma_f32 v[20:21], v[44:45], s[20:21], v[20:21] op_sel:[0,0,1] op_sel_hi:[1,0,0]
	v_mov_b32_e32 v96, v22
	v_mov_b32_e32 v97, v21
	v_pk_add_f32 v[10:11], v[96:97], v[10:11]
	v_pk_mul_f32 v[96:97], v[50:51], s[2:3] op_sel_hi:[1,0]
	v_mov_b32_e32 v63, v61
	v_pk_fma_f32 v[98:99], v[48:49], s[16:17], v[96:97] op_sel:[0,0,1] op_sel_hi:[1,0,0] neg_lo:[0,0,1] neg_hi:[0,0,1]
	v_pk_fma_f32 v[96:97], v[48:49], s[16:17], v[96:97] op_sel:[0,0,1] op_sel_hi:[1,0,0]
	v_mov_b32_e32 v100, v98
	v_mov_b32_e32 v101, v97
	v_pk_add_f32 v[10:11], v[100:101], v[10:11]
	ds_write2_b64 v8, v[4:5], v[10:11] offset1:1
	v_pk_add_f32 v[4:5], v[30:31], v[68:69]
	v_pk_add_f32 v[10:11], v[30:31], v[54:55]
	;; [unrolled: 1-line block ×5, first 2 shown]
	v_mov_b32_e32 v87, v85
	v_pk_add_f32 v[10:11], v[62:63], v[10:11]
	v_mov_b32_e32 v67, v65
	v_pk_add_f32 v[4:5], v[86:87], v[4:5]
	;; [unrolled: 2-line block ×4, first 2 shown]
	v_pk_add_f32 v[10:11], v[82:83], v[10:11]
	ds_write2_b64 v8, v[4:5], v[10:11] offset0:2 offset1:3
	v_pk_mul_f32 v[4:5], v[34:35], s[22:23] op_sel_hi:[1,0]
	v_pk_mul_f32 v[54:55], v[38:39], s[28:29] op_sel_hi:[1,0]
	v_pk_fma_f32 v[10:11], v[32:33], s[20:21], v[4:5] op_sel:[0,0,1] op_sel_hi:[1,0,0] neg_lo:[0,0,1] neg_hi:[0,0,1]
	v_pk_fma_f32 v[4:5], v[32:33], s[20:21], v[4:5] op_sel:[0,0,1] op_sel_hi:[1,0,0]
	v_mov_b32_e32 v52, v10
	v_mov_b32_e32 v53, v5
	v_pk_fma_f32 v[56:57], v[36:37], s[6:7], v[54:55] op_sel:[0,0,1] op_sel_hi:[1,0,0] neg_lo:[0,0,1] neg_hi:[0,0,1]
	v_pk_fma_f32 v[54:55], v[36:37], s[6:7], v[54:55] op_sel:[0,0,1] op_sel_hi:[1,0,0]
	v_pk_add_f32 v[52:53], v[30:31], v[52:53]
	v_mov_b32_e32 v58, v56
	v_mov_b32_e32 v59, v55
	v_pk_add_f32 v[52:53], v[58:59], v[52:53]
	v_pk_mul_f32 v[58:59], v[42:43], s[24:25] op_sel_hi:[1,0]
	v_pk_mul_f32 v[34:35], v[34:35], s[2:3] op_sel_hi:[1,0]
	v_pk_fma_f32 v[60:61], v[40:41], s[18:19], v[58:59] op_sel:[0,0,1] op_sel_hi:[1,0,0] neg_lo:[0,0,1] neg_hi:[0,0,1]
	v_pk_fma_f32 v[58:59], v[40:41], s[18:19], v[58:59] op_sel:[0,0,1] op_sel_hi:[1,0,0]
	v_mov_b32_e32 v62, v60
	v_mov_b32_e32 v63, v59
	v_pk_add_f32 v[52:53], v[62:63], v[52:53]
	v_pk_mul_f32 v[62:63], v[46:47], s[2:3] op_sel_hi:[1,0]
	v_pk_mul_f32 v[38:39], v[38:39], s[26:27] op_sel_hi:[1,0]
	v_pk_fma_f32 v[64:65], v[44:45], s[16:17], v[62:63] op_sel:[0,0,1] op_sel_hi:[1,0,0] neg_lo:[0,0,1] neg_hi:[0,0,1]
	v_pk_fma_f32 v[62:63], v[44:45], s[16:17], v[62:63] op_sel:[0,0,1] op_sel_hi:[1,0,0]
	v_mov_b32_e32 v66, v64
	v_mov_b32_e32 v67, v63
	v_pk_add_f32 v[52:53], v[66:67], v[52:53]
	v_pk_mul_f32 v[66:67], v[50:51], s[14:15] op_sel_hi:[1,0]
	v_pk_fma_f32 v[72:73], v[36:37], s[18:19], v[38:39] op_sel:[0,0,1] op_sel_hi:[1,0,0] neg_lo:[0,0,1] neg_hi:[0,0,1]
	v_pk_fma_f32 v[68:69], v[48:49], s[12:13], v[66:67] op_sel:[0,0,1] op_sel_hi:[1,0,0] neg_lo:[0,0,1] neg_hi:[0,0,1]
	v_pk_fma_f32 v[66:67], v[48:49], s[12:13], v[66:67] op_sel:[0,0,1] op_sel_hi:[1,0,0]
	v_mov_b32_e32 v70, v68
	v_mov_b32_e32 v71, v67
	v_pk_add_f32 v[52:53], v[70:71], v[52:53]
	v_pk_fma_f32 v[70:71], v[32:33], s[16:17], v[34:35] op_sel:[0,0,1] op_sel_hi:[1,0,0] neg_lo:[0,0,1] neg_hi:[0,0,1]
	v_pk_fma_f32 v[32:33], v[32:33], s[16:17], v[34:35] op_sel:[0,0,1] op_sel_hi:[1,0,0]
	v_mov_b32_e32 v34, v70
	v_mov_b32_e32 v35, v33
	v_pk_fma_f32 v[36:37], v[36:37], s[18:19], v[38:39] op_sel:[0,0,1] op_sel_hi:[1,0,0]
	v_pk_add_f32 v[34:35], v[30:31], v[34:35]
	v_mov_b32_e32 v38, v72
	v_mov_b32_e32 v39, v37
	v_pk_add_f32 v[34:35], v[38:39], v[34:35]
	v_pk_mul_f32 v[38:39], v[42:43], s[22:23] op_sel_hi:[1,0]
	v_mov_b32_e32 v33, v71
	v_pk_fma_f32 v[42:43], v[40:41], s[20:21], v[38:39] op_sel:[0,0,1] op_sel_hi:[1,0,0] neg_lo:[0,0,1] neg_hi:[0,0,1]
	v_pk_fma_f32 v[38:39], v[40:41], s[20:21], v[38:39] op_sel:[0,0,1] op_sel_hi:[1,0,0]
	v_mov_b32_e32 v40, v42
	v_mov_b32_e32 v41, v39
	v_pk_add_f32 v[34:35], v[40:41], v[34:35]
	v_pk_mul_f32 v[40:41], v[46:47], s[14:15] op_sel_hi:[1,0]
	v_mov_b32_e32 v5, v11
	v_pk_fma_f32 v[46:47], v[44:45], s[12:13], v[40:41] op_sel:[0,0,1] op_sel_hi:[1,0,0] neg_lo:[0,0,1] neg_hi:[0,0,1]
	v_pk_fma_f32 v[40:41], v[44:45], s[12:13], v[40:41] op_sel:[0,0,1] op_sel_hi:[1,0,0]
	v_mov_b32_e32 v44, v46
	v_mov_b32_e32 v45, v41
	v_pk_add_f32 v[32:33], v[30:31], v[32:33]
	v_mov_b32_e32 v37, v73
	v_pk_add_f32 v[4:5], v[30:31], v[4:5]
	;; [unrolled: 2-line block ×3, first 2 shown]
	v_pk_mul_f32 v[44:45], v[50:51], s[8:9] op_sel_hi:[1,0]
	v_pk_add_f32 v[32:33], v[36:37], v[32:33]
	v_mov_b32_e32 v39, v43
	v_pk_add_f32 v[4:5], v[54:55], v[4:5]
	v_mov_b32_e32 v59, v61
	v_pk_fma_f32 v[50:51], v[48:49], s[6:7], v[44:45] op_sel:[0,0,1] op_sel_hi:[1,0,0] neg_lo:[0,0,1] neg_hi:[0,0,1]
	v_pk_fma_f32 v[44:45], v[48:49], s[6:7], v[44:45] op_sel:[0,0,1] op_sel_hi:[1,0,0]
	v_pk_add_f32 v[32:33], v[38:39], v[32:33]
	v_mov_b32_e32 v41, v47
	v_pk_add_f32 v[4:5], v[58:59], v[4:5]
	v_mov_b32_e32 v63, v65
	v_mov_b32_e32 v48, v50
	;; [unrolled: 1-line block ×3, first 2 shown]
	v_pk_add_f32 v[32:33], v[40:41], v[32:33]
	v_mov_b32_e32 v45, v51
	v_pk_add_f32 v[4:5], v[62:63], v[4:5]
	v_mov_b32_e32 v67, v69
	v_pk_add_f32 v[34:35], v[48:49], v[34:35]
	v_pk_add_f32 v[32:33], v[44:45], v[32:33]
	;; [unrolled: 1-line block ×3, first 2 shown]
	v_mov_b32_e32 v7, v9
	ds_write2_b64 v8, v[52:53], v[34:35] offset0:4 offset1:5
	ds_write2_b64 v8, v[32:33], v[4:5] offset0:6 offset1:7
	;; [unrolled: 1-line block ×3, first 2 shown]
	v_pk_add_f32 v[4:5], v[30:31], v[6:7]
	v_mov_b32_e32 v13, v15
	v_pk_add_f32 v[4:5], v[12:13], v[4:5]
	v_mov_b32_e32 v17, v19
	;; [unrolled: 2-line block ×4, first 2 shown]
	v_pk_add_f32 v[4:5], v[96:97], v[4:5]
	ds_write_b64 v8, v[4:5] offset:80
.LBB0_20:
	s_or_b64 exec, exec, s[10:11]
	s_waitcnt lgkmcnt(0)
	s_barrier
	ds_read2_b64 v[8:11], v27 offset0:66 offset1:99
	ds_read2_b64 v[4:7], v27 offset0:22 offset1:44
	;; [unrolled: 1-line block ×3, first 2 shown]
	ds_read_b64 v[18:19], v93
	ds_read_b64 v[20:21], v27 offset:1320
	s_and_saveexec_b64 s[2:3], s[0:1]
	s_cbranch_execz .LBB0_22
; %bb.21:
	ds_read2_b64 v[0:3], v27 offset0:88 offset1:187
.LBB0_22:
	s_or_b64 exec, exec, s[2:3]
	v_add_u16_e32 v22, 22, v26
	s_movk_i32 s6, 0x75
	v_mul_lo_u16_sdwa v23, v22, s6 dst_sel:DWORD dst_unused:UNUSED_PAD src0_sel:BYTE_0 src1_sel:DWORD
	v_sub_u16_sdwa v32, v22, v23 dst_sel:DWORD dst_unused:UNUSED_PAD src0_sel:DWORD src1_sel:BYTE_1
	v_lshrrev_b16_e32 v32, 1, v32
	v_and_b32_e32 v32, 0x7f, v32
	v_add_u16_sdwa v23, v32, v23 dst_sel:DWORD dst_unused:UNUSED_PAD src0_sel:DWORD src1_sel:BYTE_1
	v_lshrrev_b16_e32 v23, 3, v23
	v_mul_lo_u16_e32 v32, 11, v23
	v_sub_u16_e32 v32, v22, v32
	v_add_u16_e32 v22, 44, v26
	v_mul_lo_u16_sdwa v33, v22, s6 dst_sel:DWORD dst_unused:UNUSED_PAD src0_sel:BYTE_0 src1_sel:DWORD
	v_sub_u16_sdwa v34, v22, v33 dst_sel:DWORD dst_unused:UNUSED_PAD src0_sel:DWORD src1_sel:BYTE_1
	v_lshrrev_b16_e32 v34, 1, v34
	v_and_b32_e32 v34, 0x7f, v34
	v_add_u16_sdwa v33, v34, v33 dst_sel:DWORD dst_unused:UNUSED_PAD src0_sel:DWORD src1_sel:BYTE_1
	v_lshrrev_b16_e32 v40, 3, v33
	v_mul_lo_u16_e32 v33, 11, v40
	v_sub_u16_e32 v33, v22, v33
	v_add_u16_e32 v22, 0x42, v26
	v_mul_lo_u16_sdwa v34, v22, s6 dst_sel:DWORD dst_unused:UNUSED_PAD src0_sel:BYTE_0 src1_sel:DWORD
	v_sub_u16_sdwa v35, v22, v34 dst_sel:DWORD dst_unused:UNUSED_PAD src0_sel:DWORD src1_sel:BYTE_1
	v_lshrrev_b16_e32 v35, 1, v35
	v_and_b32_e32 v35, 0x7f, v35
	v_add_u16_sdwa v34, v35, v34 dst_sel:DWORD dst_unused:UNUSED_PAD src0_sel:DWORD src1_sel:BYTE_1
	v_lshrrev_b16_e32 v41, 3, v34
	v_mul_lo_u16_e32 v34, 11, v41
	v_add_u32_e32 v16, -11, v26
	v_sub_u16_e32 v34, v22, v34
	v_mov_b32_e32 v22, 3
	v_cndmask_b32_e64 v16, v16, v26, s[0:1]
	v_mov_b32_e32 v17, 0
	v_lshlrev_b32_sdwa v44, v22, v34 dst_sel:DWORD dst_unused:UNUSED_PAD src0_sel:DWORD src1_sel:BYTE_0
	v_lshl_add_u64 v[30:31], v[16:17], 3, s[4:5]
	v_lshlrev_b32_sdwa v42, v22, v32 dst_sel:DWORD dst_unused:UNUSED_PAD src0_sel:DWORD src1_sel:BYTE_0
	v_lshlrev_b32_sdwa v43, v22, v33 dst_sel:DWORD dst_unused:UNUSED_PAD src0_sel:DWORD src1_sel:BYTE_0
	global_load_dwordx2 v[32:33], v44, s[4:5]
	global_load_dwordx2 v[34:35], v43, s[4:5]
	;; [unrolled: 1-line block ×3, first 2 shown]
	global_load_dwordx2 v[38:39], v[30:31], off
	v_mov_b32_e32 v30, 0xb0
	v_cmp_lt_u32_e64 s[2:3], 10, v26
	s_movk_i32 s7, 0xb0
	v_lshlrev_b32_e32 v16, 3, v16
	v_cndmask_b32_e64 v30, 0, v30, s[2:3]
	v_add_u32_e32 v30, 0, v30
	v_add3_u32 v16, v30, v16, v29
	v_mad_u32_u24 v30, v40, s7, 0
	v_mad_u32_u24 v31, v41, s7, 0
	;; [unrolled: 1-line block ×3, first 2 shown]
	v_add3_u32 v48, v30, v43, v29
	v_add3_u32 v49, v31, v44, v29
	;; [unrolled: 1-line block ×3, first 2 shown]
	s_waitcnt lgkmcnt(0)
	s_barrier
	s_waitcnt vmcnt(3)
	v_pk_mul_f32 v[30:31], v[32:33], v[20:21] op_sel:[0,1]
	s_waitcnt vmcnt(2)
	v_pk_mul_f32 v[40:41], v[34:35], v[14:15] op_sel:[0,1]
	;; [unrolled: 2-line block ×4, first 2 shown]
	v_pk_fma_f32 v[46:47], v[32:33], v[20:21], v[30:31] op_sel:[0,0,1] op_sel_hi:[1,1,0] neg_lo:[0,0,1] neg_hi:[0,0,1]
	v_pk_fma_f32 v[20:21], v[32:33], v[20:21], v[30:31] op_sel:[0,0,1] op_sel_hi:[1,0,0]
	v_pk_fma_f32 v[30:31], v[34:35], v[14:15], v[40:41] op_sel:[0,0,1] op_sel_hi:[1,1,0] neg_lo:[0,0,1] neg_hi:[0,0,1]
	v_pk_fma_f32 v[14:15], v[34:35], v[14:15], v[40:41] op_sel:[0,0,1] op_sel_hi:[1,0,0]
	;; [unrolled: 2-line block ×4, first 2 shown]
	v_mov_b32_e32 v35, v11
	v_mov_b32_e32 v47, v21
	;; [unrolled: 1-line block ×4, first 2 shown]
	v_pk_add_f32 v[20:21], v[18:19], v[34:35] neg_lo:[0,1] neg_hi:[0,1]
	v_pk_add_f32 v[10:11], v[8:9], v[46:47] neg_lo:[0,1] neg_hi:[0,1]
	;; [unrolled: 1-line block ×4, first 2 shown]
	v_pk_fma_f32 v[18:19], v[18:19], 2.0, v[20:21] op_sel_hi:[1,0,1] neg_lo:[0,0,1] neg_hi:[0,0,1]
	v_pk_fma_f32 v[8:9], v[8:9], 2.0, v[10:11] op_sel_hi:[1,0,1] neg_lo:[0,0,1] neg_hi:[0,0,1]
	;; [unrolled: 1-line block ×4, first 2 shown]
	ds_write2_b64 v16, v[18:19], v[20:21] offset1:11
	ds_write2_b64 v23, v[4:5], v[14:15] offset1:11
	;; [unrolled: 1-line block ×4, first 2 shown]
	s_and_saveexec_b64 s[2:3], s[0:1]
	s_cbranch_execz .LBB0_24
; %bb.23:
	v_add_u16_e32 v4, 0x58, v26
	v_mul_lo_u16_sdwa v5, v4, s6 dst_sel:DWORD dst_unused:UNUSED_PAD src0_sel:BYTE_0 src1_sel:DWORD
	v_sub_u16_sdwa v6, v4, v5 dst_sel:DWORD dst_unused:UNUSED_PAD src0_sel:DWORD src1_sel:BYTE_1
	v_lshrrev_b16_e32 v6, 1, v6
	v_and_b32_e32 v6, 0x7f, v6
	v_add_u16_sdwa v5, v6, v5 dst_sel:DWORD dst_unused:UNUSED_PAD src0_sel:DWORD src1_sel:BYTE_1
	v_lshrrev_b16_e32 v5, 3, v5
	v_mul_lo_u16_e32 v5, 11, v5
	v_sub_u16_e32 v4, v4, v5
	v_lshlrev_b32_sdwa v7, v22, v4 dst_sel:DWORD dst_unused:UNUSED_PAD src0_sel:DWORD src1_sel:BYTE_0
	global_load_dwordx2 v[4:5], v7, s[4:5]
	v_mov_b32_e32 v6, v3
	v_add3_u32 v10, 0, v7, v29
	s_waitcnt vmcnt(0)
	v_pk_mul_f32 v[6:7], v[6:7], v[4:5] op_sel_hi:[0,1]
	v_pk_fma_f32 v[8:9], v[2:3], v[4:5], v[6:7] op_sel:[0,0,1] op_sel_hi:[1,1,0] neg_lo:[0,0,1] neg_hi:[0,0,1]
	v_pk_fma_f32 v[2:3], v[2:3], v[4:5], v[6:7] op_sel:[0,0,1] op_sel_hi:[0,1,0]
	v_mov_b32_e32 v9, v3
	v_pk_add_f32 v[2:3], v[0:1], v[8:9] neg_lo:[0,1] neg_hi:[0,1]
	s_nop 0
	v_pk_fma_f32 v[0:1], v[0:1], 2.0, v[2:3] op_sel_hi:[1,0,1] neg_lo:[0,0,1] neg_hi:[0,0,1]
	ds_write2_b64 v10, v[0:1], v[2:3] offset0:176 offset1:187
.LBB0_24:
	s_or_b64 exec, exec, s[2:3]
	v_mov_b32_e32 v29, v17
	v_lshl_add_u64 v[0:1], v[28:29], 3, s[4:5]
	s_waitcnt lgkmcnt(0)
	s_barrier
	global_load_dwordx4 v[2:5], v[0:1], off offset:88
	global_load_dwordx4 v[6:9], v[0:1], off offset:136
	;; [unrolled: 1-line block ×4, first 2 shown]
	ds_read_b64 v[0:1], v93
	ds_read2_b64 v[18:21], v27 offset0:22 offset1:44
	ds_read2_b64 v[28:31], v27 offset0:66 offset1:88
	;; [unrolled: 1-line block ×4, first 2 shown]
	s_mov_b32 s0, 0x3f248dbb
	s_waitcnt lgkmcnt(3)
	v_mov_b32_e32 v42, v19
	v_mov_b32_e32 v43, v21
	;; [unrolled: 1-line block ×4, first 2 shown]
	s_waitcnt lgkmcnt(0)
	v_mov_b32_e32 v46, v37
	v_mov_b32_e32 v47, v39
	;; [unrolled: 1-line block ×11, first 2 shown]
	s_mov_b32 s1, 0x3f7c1c5c
	s_mov_b32 s2, s1
	;; [unrolled: 1-line block ×7, first 2 shown]
	s_barrier
	s_mov_b32 s12, s1
	s_waitcnt vmcnt(3)
	v_mov_b32_e32 v62, v2
	v_mov_b32_e32 v63, v5
	s_waitcnt vmcnt(1)
	v_mul_f32_e32 v56, v11, v29
	s_waitcnt vmcnt(0)
	v_pk_mul_f32 v[54:55], v[34:35], v[16:17]
	v_mov_b32_e32 v57, v16
	v_pk_mul_f32 v[58:59], v[12:13], v[30:31] op_sel:[0,1]
	v_pk_mul_f32 v[60:61], v[14:15], v[32:33] op_sel:[0,1]
	v_mov_b32_e32 v65, v2
	v_mov_b32_e32 v2, v5
	;; [unrolled: 1-line block ×10, first 2 shown]
	v_mul_f32_e32 v29, v10, v29
	v_mov_b32_e32 v64, v4
	v_mov_b32_e32 v68, v8
	v_pk_fma_f32 v[70:71], v[12:13], v[30:31], v[58:59] op_sel:[0,0,1] op_sel_hi:[1,1,0] neg_lo:[0,0,1] neg_hi:[0,0,1]
	v_pk_fma_f32 v[12:13], v[12:13], v[30:31], v[58:59] op_sel:[0,0,1] op_sel_hi:[1,0,0]
	v_fma_f32 v31, v10, v28, -v56
	v_mov_b32_e32 v10, v55
	v_pk_mul_f32 v[54:55], v[34:35], v[56:57]
	v_pk_fma_f32 v[56:57], v[14:15], v[32:33], v[60:61] op_sel:[0,0,1] op_sel_hi:[1,1,0] neg_lo:[0,0,1] neg_hi:[0,0,1]
	v_pk_fma_f32 v[14:15], v[14:15], v[32:33], v[60:61] op_sel:[0,0,1] op_sel_hi:[1,0,0]
	v_pk_mul_f32 v[32:33], v[62:63], v[42:43]
	v_pk_mul_f32 v[2:3], v[2:3], v[20:21]
	;; [unrolled: 1-line block ×4, first 2 shown]
	v_mul_f32_e32 v11, v11, v28
	v_pk_mul_f32 v[22:23], v[22:23], v[16:17]
	v_mov_b32_e32 v71, v13
	v_mov_b32_e32 v57, v15
	v_pk_fma_f32 v[12:13], v[50:51], v[40:41], v[32:33]
	v_pk_fma_f32 v[14:15], v[50:51], v[40:41], v[32:33] neg_lo:[0,0,1] neg_hi:[0,0,1]
	v_pk_fma_f32 v[4:5], v[4:5], v[44:45], v[2:3] op_sel_hi:[0,1,1]
	v_pk_fma_f32 v[2:3], v[64:65], v[44:45], v[2:3] neg_lo:[0,0,1] neg_hi:[0,0,1]
	v_pk_fma_f32 v[32:33], v[36:37], v[52:53], v[20:21]
	v_pk_fma_f32 v[18:19], v[18:19], v[52:53], v[20:21] neg_lo:[0,0,1] neg_hi:[0,0,1]
	v_pk_fma_f32 v[8:9], v[48:49], v[8:9], v[6:7] op_sel_hi:[1,0,1]
	v_pk_fma_f32 v[6:7], v[48:49], v[68:69], v[6:7] neg_lo:[0,0,1] neg_hi:[0,0,1]
	v_pk_fma_f32 v[16:17], v[34:35], v[16:17], v[10:11] neg_lo:[0,0,1] neg_hi:[0,0,1]
	v_mov_b32_e32 v5, v3
	v_mov_b32_e32 v33, v19
	;; [unrolled: 1-line block ×8, first 2 shown]
	v_pk_add_f32 v[18:19], v[4:5], v[32:33]
	v_pk_add_f32 v[4:5], v[4:5], v[32:33] neg_lo:[0,1] neg_hi:[0,1]
	v_pk_add_f32 v[20:21], v[54:55], v[22:23]
	v_pk_add_f32 v[6:7], v[28:29], v[10:11]
	;; [unrolled: 1-line block ×3, first 2 shown]
	v_pk_add_f32 v[8:9], v[12:13], v[8:9] neg_lo:[0,1] neg_hi:[0,1]
	v_pk_mul_f32 v[12:13], v[4:5], s[2:3]
	v_mov_b32_e32 v30, v7
	v_mov_b32_e32 v10, v21
	;; [unrolled: 1-line block ×3, first 2 shown]
	v_pk_fma_f32 v[12:13], v[8:9], s[0:1], v[12:13]
	v_pk_add_f32 v[10:11], v[30:31], v[10:11] neg_lo:[0,1] neg_hi:[0,1]
	s_mov_b32 s2, 0x3f5db3d7
	v_pk_add_f32 v[14:15], v[70:71], v[56:57] neg_lo:[0,1] neg_hi:[0,1]
	v_pk_fma_f32 v[12:13], v[10:11], s[2:3], v[12:13] op_sel_hi:[1,0,1]
	v_pk_mul_f32 v[22:23], v[14:15], s[4:5] op_sel_hi:[1,0]
	v_mov_b32_e32 v30, v31
	v_pk_add_f32 v[12:13], v[22:23], v[12:13] op_sel:[1,0] op_sel_hi:[0,1]
	v_mov_b32_e32 v22, v20
	v_mov_b32_e32 v23, v2
	;; [unrolled: 1-line block ×4, first 2 shown]
	v_pk_fma_f32 v[28:29], v[22:23], s[6:7], v[0:1] op_sel_hi:[1,0,1]
	v_mov_b32_e32 v32, v6
	v_mov_b32_e32 v33, v18
	v_pk_add_f32 v[2:3], v[30:31], v[16:17]
	v_pk_add_f32 v[6:7], v[6:7], v[20:21]
	v_pk_fma_f32 v[28:29], v[32:33], s[8:9], v[28:29] op_sel_hi:[1,0,1]
	v_mov_b32_e32 v16, v2
	v_mov_b32_e32 v17, v7
	v_pk_fma_f32 v[18:19], v[16:17], 0.5, v[28:29] op_sel_hi:[1,0,1] neg_lo:[1,0,0] neg_hi:[1,0,0]
	v_pk_add_f32 v[20:21], v[70:71], v[56:57]
	v_pk_add_f32 v[30:31], v[6:7], v[2:3]
	v_pk_fma_f32 v[18:19], v[20:21], s[10:11], v[18:19] op_sel_hi:[1,0,1] neg_lo:[1,0,0] neg_hi:[1,0,0]
	v_pk_add_f32 v[30:31], v[70:71], v[30:31]
	v_pk_add_f32 v[28:29], v[18:19], v[12:13]
	v_pk_add_f32 v[18:19], v[18:19], v[12:13] neg_lo:[0,1] neg_hi:[0,1]
	v_pk_add_f32 v[30:31], v[56:57], v[30:31]
	v_mov_b32_e32 v29, v19
	v_pk_add_f32 v[30:31], v[0:1], v[30:31]
	v_fma_f32 v13, 2.0, v13, v19
	ds_write2_b64 v27, v[30:31], v[28:29] offset1:22
	v_mov_b32_e32 v18, v8
	v_mov_b32_e32 v19, v5
	v_pk_mul_f32 v[30:31], v[14:15], s[0:1] op_sel_hi:[1,0]
	v_pk_fma_f32 v[34:35], v[20:21], s[6:7], v[0:1] op_sel_hi:[1,0,1]
	v_pk_fma_f32 v[30:31], v[18:19], s[12:13], v[30:31] op_sel:[0,0,1] op_sel_hi:[1,0,0] neg_lo:[0,0,1] neg_hi:[0,0,1]
	v_pk_fma_f32 v[34:35], v[22:23], s[8:9], v[34:35] op_sel_hi:[1,0,1]
	v_fma_f32 v12, -2.0, v12, v28
	v_mov_b32_e32 v28, v4
	v_mov_b32_e32 v29, v9
	v_pk_fma_f32 v[30:31], v[10:11], s[2:3], v[30:31] op_sel_hi:[1,0,1] neg_lo:[1,0,0] neg_hi:[1,0,0]
	v_pk_fma_f32 v[34:35], v[16:17], 0.5, v[34:35] op_sel_hi:[1,0,1] neg_lo:[1,0,0] neg_hi:[1,0,0]
	v_pk_fma_f32 v[30:31], v[28:29], s[4:5], v[30:31] op_sel_hi:[1,0,1]
	v_pk_fma_f32 v[34:35], v[32:33], s[10:11], v[34:35] op_sel_hi:[1,0,1] neg_lo:[1,0,0] neg_hi:[1,0,0]
	v_mov_b32_e32 v7, v3
	v_pk_add_f32 v[36:37], v[34:35], v[30:31]
	v_pk_add_f32 v[34:35], v[34:35], v[30:31] neg_lo:[0,1] neg_hi:[0,1]
	v_pk_add_f32 v[2:3], v[20:21], v[6:7]
	v_fma_f32 v34, -2.0, v30, v36
	v_mov_b32_e32 v37, v35
	v_fmac_f32_e32 v35, 2.0, v31
	v_mov_b32_e32 v30, v5
	v_mov_b32_e32 v31, v8
	v_pk_add_f32 v[30:31], v[14:15], v[30:31]
	v_mov_b32_e32 v8, v9
	v_mov_b32_e32 v9, v4
	v_pk_add_f32 v[4:5], v[30:31], v[8:9] neg_lo:[0,1] neg_hi:[0,1]
	v_pk_add_f32 v[8:9], v[16:17], v[0:1]
	v_pk_mul_f32 v[4:5], v[4:5], s[2:3] op_sel_hi:[1,0]
	v_pk_fma_f32 v[2:3], v[2:3], 0.5, v[8:9] op_sel_hi:[1,0,1] neg_lo:[1,0,0] neg_hi:[1,0,0]
	s_mov_b32 s0, 0xbf248dbb
	v_pk_add_f32 v[6:7], v[2:3], v[4:5] op_sel:[0,1] op_sel_hi:[1,0]
	v_pk_add_f32 v[2:3], v[2:3], v[4:5] op_sel:[0,1] op_sel_hi:[1,0] neg_lo:[0,1] neg_hi:[0,1]
	v_pk_fma_f32 v[0:1], v[32:33], s[6:7], v[0:1] op_sel_hi:[1,0,1]
	v_fma_f32 v2, -2.0, v5, v6
	v_mov_b32_e32 v7, v3
	v_fmac_f32_e32 v3, 2.0, v4
	v_pk_mul_f32 v[4:5], v[14:15], s[12:13] op_sel_hi:[1,0]
	v_pk_fma_f32 v[0:1], v[20:21], s[8:9], v[0:1] op_sel_hi:[1,0,1]
	v_pk_fma_f32 v[4:5], v[28:29], s[0:1], v[4:5] op_sel:[0,0,1] op_sel_hi:[1,0,0] neg_lo:[0,0,1] neg_hi:[0,0,1]
	v_pk_fma_f32 v[0:1], v[16:17], 0.5, v[0:1] op_sel_hi:[1,0,1] neg_lo:[1,0,0] neg_hi:[1,0,0]
	v_pk_fma_f32 v[4:5], v[10:11], s[2:3], v[4:5] op_sel_hi:[1,0,1]
	v_pk_fma_f32 v[0:1], v[22:23], s[10:11], v[0:1] op_sel_hi:[1,0,1] neg_lo:[1,0,0] neg_hi:[1,0,0]
	v_pk_fma_f32 v[4:5], v[18:19], s[4:5], v[4:5] op_sel_hi:[1,0,1]
	ds_write2_b64 v27, v[36:37], v[6:7] offset0:44 offset1:66
	v_pk_add_f32 v[6:7], v[0:1], v[4:5]
	v_pk_add_f32 v[0:1], v[0:1], v[4:5] neg_lo:[0,1] neg_hi:[0,1]
	s_nop 0
	v_fma_f32 v0, -2.0, v4, v6
	v_mov_b32_e32 v7, v1
	v_fmac_f32_e32 v1, 2.0, v5
	ds_write2_b64 v27, v[6:7], v[0:1] offset0:88 offset1:110
	ds_write2_b64 v27, v[2:3], v[34:35] offset0:132 offset1:154
	ds_write_b64 v27, v[12:13] offset:1408
	s_waitcnt lgkmcnt(0)
	s_barrier
	s_and_saveexec_b64 s[0:1], vcc
	s_cbranch_execz .LBB0_26
; %bb.25:
	v_lshl_add_u32 v8, v26, 3, v92
	ds_read2_b64 v[0:3], v8 offset1:22
	v_mov_b32_e32 v27, 0
	v_add_u32_e32 v4, 22, v26
	v_lshl_add_u64 v[6:7], v[26:27], 3, v[24:25]
	v_mov_b32_e32 v5, v27
	s_waitcnt lgkmcnt(0)
	global_store_dwordx2 v[6:7], v[0:1], off
	v_lshl_add_u64 v[0:1], v[4:5], 3, v[24:25]
	ds_read2_b64 v[4:7], v8 offset0:44 offset1:66
	global_store_dwordx2 v[0:1], v[2:3], off
	v_add_u32_e32 v0, 44, v26
	v_mov_b32_e32 v1, v27
	v_lshl_add_u64 v[0:1], v[0:1], 3, v[24:25]
	s_waitcnt lgkmcnt(0)
	global_store_dwordx2 v[0:1], v[4:5], off
	v_add_u32_e32 v0, 0x42, v26
	v_mov_b32_e32 v1, v27
	v_lshl_add_u64 v[4:5], v[0:1], 3, v[24:25]
	ds_read2_b64 v[0:3], v8 offset0:88 offset1:110
	global_store_dwordx2 v[4:5], v[6:7], off
	v_add_u32_e32 v4, 0x58, v26
	v_mov_b32_e32 v5, v27
	v_lshl_add_u64 v[4:5], v[4:5], 3, v[24:25]
	s_waitcnt lgkmcnt(0)
	global_store_dwordx2 v[4:5], v[0:1], off
	ds_read2_b64 v[4:7], v8 offset0:132 offset1:154
	v_add_u32_e32 v0, 0x6e, v26
	v_mov_b32_e32 v1, v27
	v_lshl_add_u64 v[0:1], v[0:1], 3, v[24:25]
	global_store_dwordx2 v[0:1], v[2:3], off
	v_add_u32_e32 v0, 0x84, v26
	v_mov_b32_e32 v1, v27
	ds_read_b64 v[2:3], v8 offset:1408
	v_lshl_add_u64 v[0:1], v[0:1], 3, v[24:25]
	s_waitcnt lgkmcnt(1)
	global_store_dwordx2 v[0:1], v[4:5], off
	v_add_u32_e32 v0, 0x9a, v26
	v_mov_b32_e32 v1, v27
	v_lshl_add_u64 v[0:1], v[0:1], 3, v[24:25]
	v_add_u32_e32 v26, 0xb0, v26
	global_store_dwordx2 v[0:1], v[6:7], off
	v_lshl_add_u64 v[0:1], v[26:27], 3, v[24:25]
	s_waitcnt lgkmcnt(0)
	global_store_dwordx2 v[0:1], v[2:3], off
.LBB0_26:
	s_endpgm
	.section	.rodata,"a",@progbits
	.p2align	6, 0x0
	.amdhsa_kernel fft_rtc_fwd_len198_factors_11_2_9_wgs_110_tpt_22_sp_ip_CI_unitstride_sbrr_C2R_dirReg
		.amdhsa_group_segment_fixed_size 0
		.amdhsa_private_segment_fixed_size 0
		.amdhsa_kernarg_size 88
		.amdhsa_user_sgpr_count 2
		.amdhsa_user_sgpr_dispatch_ptr 0
		.amdhsa_user_sgpr_queue_ptr 0
		.amdhsa_user_sgpr_kernarg_segment_ptr 1
		.amdhsa_user_sgpr_dispatch_id 0
		.amdhsa_user_sgpr_kernarg_preload_length 0
		.amdhsa_user_sgpr_kernarg_preload_offset 0
		.amdhsa_user_sgpr_private_segment_size 0
		.amdhsa_uses_dynamic_stack 0
		.amdhsa_enable_private_segment 0
		.amdhsa_system_sgpr_workgroup_id_x 1
		.amdhsa_system_sgpr_workgroup_id_y 0
		.amdhsa_system_sgpr_workgroup_id_z 0
		.amdhsa_system_sgpr_workgroup_info 0
		.amdhsa_system_vgpr_workitem_id 0
		.amdhsa_next_free_vgpr 102
		.amdhsa_next_free_sgpr 32
		.amdhsa_accum_offset 104
		.amdhsa_reserve_vcc 1
		.amdhsa_float_round_mode_32 0
		.amdhsa_float_round_mode_16_64 0
		.amdhsa_float_denorm_mode_32 3
		.amdhsa_float_denorm_mode_16_64 3
		.amdhsa_dx10_clamp 1
		.amdhsa_ieee_mode 1
		.amdhsa_fp16_overflow 0
		.amdhsa_tg_split 0
		.amdhsa_exception_fp_ieee_invalid_op 0
		.amdhsa_exception_fp_denorm_src 0
		.amdhsa_exception_fp_ieee_div_zero 0
		.amdhsa_exception_fp_ieee_overflow 0
		.amdhsa_exception_fp_ieee_underflow 0
		.amdhsa_exception_fp_ieee_inexact 0
		.amdhsa_exception_int_div_zero 0
	.end_amdhsa_kernel
	.text
.Lfunc_end0:
	.size	fft_rtc_fwd_len198_factors_11_2_9_wgs_110_tpt_22_sp_ip_CI_unitstride_sbrr_C2R_dirReg, .Lfunc_end0-fft_rtc_fwd_len198_factors_11_2_9_wgs_110_tpt_22_sp_ip_CI_unitstride_sbrr_C2R_dirReg
                                        ; -- End function
	.section	.AMDGPU.csdata,"",@progbits
; Kernel info:
; codeLenInByte = 6376
; NumSgprs: 38
; NumVgprs: 102
; NumAgprs: 0
; TotalNumVgprs: 102
; ScratchSize: 0
; MemoryBound: 0
; FloatMode: 240
; IeeeMode: 1
; LDSByteSize: 0 bytes/workgroup (compile time only)
; SGPRBlocks: 4
; VGPRBlocks: 12
; NumSGPRsForWavesPerEU: 38
; NumVGPRsForWavesPerEU: 102
; AccumOffset: 104
; Occupancy: 4
; WaveLimiterHint : 1
; COMPUTE_PGM_RSRC2:SCRATCH_EN: 0
; COMPUTE_PGM_RSRC2:USER_SGPR: 2
; COMPUTE_PGM_RSRC2:TRAP_HANDLER: 0
; COMPUTE_PGM_RSRC2:TGID_X_EN: 1
; COMPUTE_PGM_RSRC2:TGID_Y_EN: 0
; COMPUTE_PGM_RSRC2:TGID_Z_EN: 0
; COMPUTE_PGM_RSRC2:TIDIG_COMP_CNT: 0
; COMPUTE_PGM_RSRC3_GFX90A:ACCUM_OFFSET: 25
; COMPUTE_PGM_RSRC3_GFX90A:TG_SPLIT: 0
	.text
	.p2alignl 6, 3212836864
	.fill 256, 4, 3212836864
	.type	__hip_cuid_e52194e0479ad358,@object ; @__hip_cuid_e52194e0479ad358
	.section	.bss,"aw",@nobits
	.globl	__hip_cuid_e52194e0479ad358
__hip_cuid_e52194e0479ad358:
	.byte	0                               ; 0x0
	.size	__hip_cuid_e52194e0479ad358, 1

	.ident	"AMD clang version 19.0.0git (https://github.com/RadeonOpenCompute/llvm-project roc-6.4.0 25133 c7fe45cf4b819c5991fe208aaa96edf142730f1d)"
	.section	".note.GNU-stack","",@progbits
	.addrsig
	.addrsig_sym __hip_cuid_e52194e0479ad358
	.amdgpu_metadata
---
amdhsa.kernels:
  - .agpr_count:     0
    .args:
      - .actual_access:  read_only
        .address_space:  global
        .offset:         0
        .size:           8
        .value_kind:     global_buffer
      - .offset:         8
        .size:           8
        .value_kind:     by_value
      - .actual_access:  read_only
        .address_space:  global
        .offset:         16
        .size:           8
        .value_kind:     global_buffer
      - .actual_access:  read_only
        .address_space:  global
        .offset:         24
        .size:           8
        .value_kind:     global_buffer
      - .offset:         32
        .size:           8
        .value_kind:     by_value
      - .actual_access:  read_only
        .address_space:  global
        .offset:         40
        .size:           8
        .value_kind:     global_buffer
      - .actual_access:  read_only
        .address_space:  global
        .offset:         48
        .size:           8
        .value_kind:     global_buffer
      - .offset:         56
        .size:           4
        .value_kind:     by_value
      - .actual_access:  read_only
        .address_space:  global
        .offset:         64
        .size:           8
        .value_kind:     global_buffer
      - .actual_access:  read_only
        .address_space:  global
        .offset:         72
        .size:           8
        .value_kind:     global_buffer
      - .address_space:  global
        .offset:         80
        .size:           8
        .value_kind:     global_buffer
    .group_segment_fixed_size: 0
    .kernarg_segment_align: 8
    .kernarg_segment_size: 88
    .language:       OpenCL C
    .language_version:
      - 2
      - 0
    .max_flat_workgroup_size: 110
    .name:           fft_rtc_fwd_len198_factors_11_2_9_wgs_110_tpt_22_sp_ip_CI_unitstride_sbrr_C2R_dirReg
    .private_segment_fixed_size: 0
    .sgpr_count:     38
    .sgpr_spill_count: 0
    .symbol:         fft_rtc_fwd_len198_factors_11_2_9_wgs_110_tpt_22_sp_ip_CI_unitstride_sbrr_C2R_dirReg.kd
    .uniform_work_group_size: 1
    .uses_dynamic_stack: false
    .vgpr_count:     102
    .vgpr_spill_count: 0
    .wavefront_size: 64
amdhsa.target:   amdgcn-amd-amdhsa--gfx950
amdhsa.version:
  - 1
  - 2
...

	.end_amdgpu_metadata
